;; amdgpu-corpus repo=zjin-lcf/HeCBench kind=compiled arch=gfx906 opt=O3
	.amdgcn_target "amdgcn-amd-amdhsa--gfx906"
	.amdhsa_code_object_version 6
	.section	.text._Z18benchmark_constantIiEvPii,"axG",@progbits,_Z18benchmark_constantIiEvPii,comdat
	.protected	_Z18benchmark_constantIiEvPii ; -- Begin function _Z18benchmark_constantIiEvPii
	.globl	_Z18benchmark_constantIiEvPii
	.p2align	8
	.type	_Z18benchmark_constantIiEvPii,@function
_Z18benchmark_constantIiEvPii:          ; @_Z18benchmark_constantIiEvPii
; %bb.0:
	s_mov_b32 s2, 0
	s_mov_b32 s3, -4
	s_getpc_b64 s[0:1]
	s_add_u32 s0, s0, constant_data@rel32@lo+4
	s_addc_u32 s1, s1, constant_data@rel32@hi+12
.LBB0_1:                                ; =>This Inner Loop Header: Depth=1
	s_load_dword s7, s[0:1], 0x0
	s_load_dword s8, s[0:1], 0x10
	s_load_dword s9, s[0:1], 0x20
	s_load_dword s10, s[0:1], 0x30
	s_load_dword s11, s[0:1], 0x40
	s_load_dword s12, s[0:1], 0x50
	s_load_dword s13, s[0:1], 0x60
	s_load_dword s14, s[0:1], 0x70
	s_load_dword s15, s[0:1], 0x80
	s_load_dword s16, s[0:1], 0x90
	s_load_dword s17, s[0:1], 0xa0
	s_load_dword s18, s[0:1], 0xb0
	s_load_dword s19, s[0:1], 0xc0
	s_load_dword s20, s[0:1], 0xd0
	s_load_dword s21, s[0:1], 0xe0
	s_load_dword s22, s[0:1], 0xf0
	s_waitcnt lgkmcnt(0)
	s_add_i32 s7, s7, s2
	s_add_i32 s8, s8, s7
	s_add_i32 s9, s9, s8
	s_add_i32 s10, s10, s9
	s_add_i32 s11, s11, s10
	s_add_i32 s12, s12, s11
	s_add_i32 s13, s13, s12
	s_add_i32 s14, s14, s13
	s_add_i32 s15, s15, s14
	s_add_i32 s16, s16, s15
	s_add_i32 s17, s17, s16
	s_add_i32 s18, s18, s17
	s_add_i32 s19, s19, s18
	s_add_i32 s20, s20, s19
	s_add_i32 s21, s21, s20
	s_add_i32 s3, s3, 64
	s_add_i32 s2, s22, s21
	s_add_u32 s0, s0, 0x100
	s_addc_u32 s1, s1, 0
	s_cmpk_lt_u32 s3, 0x3fc
	s_cbranch_scc1 .LBB0_1
; %bb.2:
	s_mov_b32 s3, -4
	s_getpc_b64 s[0:1]
	s_add_u32 s0, s0, constant_data@rel32@lo+8
	s_addc_u32 s1, s1, constant_data@rel32@hi+16
.LBB0_3:                                ; =>This Inner Loop Header: Depth=1
	s_load_dword s7, s[0:1], 0x0
	s_load_dword s8, s[0:1], 0x10
	s_load_dword s9, s[0:1], 0x20
	s_load_dword s10, s[0:1], 0x30
	s_load_dword s11, s[0:1], 0x40
	s_load_dword s12, s[0:1], 0x50
	s_load_dword s13, s[0:1], 0x60
	s_load_dword s14, s[0:1], 0x70
	s_load_dword s15, s[0:1], 0x80
	s_load_dword s16, s[0:1], 0x90
	s_load_dword s17, s[0:1], 0xa0
	s_load_dword s18, s[0:1], 0xb0
	s_load_dword s19, s[0:1], 0xc0
	s_load_dword s20, s[0:1], 0xd0
	s_load_dword s21, s[0:1], 0xe0
	s_load_dword s22, s[0:1], 0xf0
	s_waitcnt lgkmcnt(0)
	s_add_i32 s7, s7, s2
	s_add_i32 s8, s8, s7
	s_add_i32 s9, s9, s8
	s_add_i32 s10, s10, s9
	s_add_i32 s11, s11, s10
	s_add_i32 s12, s12, s11
	s_add_i32 s13, s13, s12
	s_add_i32 s14, s14, s13
	s_add_i32 s15, s15, s14
	s_add_i32 s16, s16, s15
	s_add_i32 s17, s17, s16
	s_add_i32 s18, s18, s17
	s_add_i32 s19, s19, s18
	s_add_i32 s20, s20, s19
	s_add_i32 s21, s21, s20
	s_add_i32 s3, s3, 64
	s_add_i32 s2, s22, s21
	s_add_u32 s0, s0, 0x100
	s_addc_u32 s1, s1, 0
	s_cmpk_lt_u32 s3, 0x3fc
	s_cbranch_scc1 .LBB0_3
; %bb.4:
	;; [unrolled: 44-line block ×4, first 2 shown]
	v_or_b32_e32 v0, s6, v0
	v_cmp_eq_u32_e32 vcc, 0, v0
	s_and_saveexec_b64 s[0:1], vcc
	s_cbranch_execz .LBB0_10
; %bb.9:
	s_load_dwordx2 s[0:1], s[4:5], 0x0
	v_mov_b32_e32 v0, 0
	v_mov_b32_e32 v1, s2
	s_waitcnt lgkmcnt(0)
	global_store_dword v0, v1, s[0:1]
.LBB0_10:
	s_endpgm
	.section	.rodata,"a",@progbits
	.p2align	6, 0x0
	.amdhsa_kernel _Z18benchmark_constantIiEvPii
		.amdhsa_group_segment_fixed_size 0
		.amdhsa_private_segment_fixed_size 0
		.amdhsa_kernarg_size 12
		.amdhsa_user_sgpr_count 6
		.amdhsa_user_sgpr_private_segment_buffer 1
		.amdhsa_user_sgpr_dispatch_ptr 0
		.amdhsa_user_sgpr_queue_ptr 0
		.amdhsa_user_sgpr_kernarg_segment_ptr 1
		.amdhsa_user_sgpr_dispatch_id 0
		.amdhsa_user_sgpr_flat_scratch_init 0
		.amdhsa_user_sgpr_private_segment_size 0
		.amdhsa_uses_dynamic_stack 0
		.amdhsa_system_sgpr_private_segment_wavefront_offset 0
		.amdhsa_system_sgpr_workgroup_id_x 1
		.amdhsa_system_sgpr_workgroup_id_y 0
		.amdhsa_system_sgpr_workgroup_id_z 0
		.amdhsa_system_sgpr_workgroup_info 0
		.amdhsa_system_vgpr_workitem_id 0
		.amdhsa_next_free_vgpr 2
		.amdhsa_next_free_sgpr 23
		.amdhsa_reserve_vcc 1
		.amdhsa_reserve_flat_scratch 0
		.amdhsa_float_round_mode_32 0
		.amdhsa_float_round_mode_16_64 0
		.amdhsa_float_denorm_mode_32 3
		.amdhsa_float_denorm_mode_16_64 3
		.amdhsa_dx10_clamp 1
		.amdhsa_ieee_mode 1
		.amdhsa_fp16_overflow 0
		.amdhsa_exception_fp_ieee_invalid_op 0
		.amdhsa_exception_fp_denorm_src 0
		.amdhsa_exception_fp_ieee_div_zero 0
		.amdhsa_exception_fp_ieee_overflow 0
		.amdhsa_exception_fp_ieee_underflow 0
		.amdhsa_exception_fp_ieee_inexact 0
		.amdhsa_exception_int_div_zero 0
	.end_amdhsa_kernel
	.section	.text._Z18benchmark_constantIiEvPii,"axG",@progbits,_Z18benchmark_constantIiEvPii,comdat
.Lfunc_end0:
	.size	_Z18benchmark_constantIiEvPii, .Lfunc_end0-_Z18benchmark_constantIiEvPii
                                        ; -- End function
	.set _Z18benchmark_constantIiEvPii.num_vgpr, 2
	.set _Z18benchmark_constantIiEvPii.num_agpr, 0
	.set _Z18benchmark_constantIiEvPii.numbered_sgpr, 23
	.set _Z18benchmark_constantIiEvPii.num_named_barrier, 0
	.set _Z18benchmark_constantIiEvPii.private_seg_size, 0
	.set _Z18benchmark_constantIiEvPii.uses_vcc, 1
	.set _Z18benchmark_constantIiEvPii.uses_flat_scratch, 0
	.set _Z18benchmark_constantIiEvPii.has_dyn_sized_stack, 0
	.set _Z18benchmark_constantIiEvPii.has_recursion, 0
	.set _Z18benchmark_constantIiEvPii.has_indirect_call, 0
	.section	.AMDGPU.csdata,"",@progbits
; Kernel info:
; codeLenInByte = 1028
; TotalNumSgprs: 27
; NumVgprs: 2
; ScratchSize: 0
; MemoryBound: 0
; FloatMode: 240
; IeeeMode: 1
; LDSByteSize: 0 bytes/workgroup (compile time only)
; SGPRBlocks: 3
; VGPRBlocks: 0
; NumSGPRsForWavesPerEU: 27
; NumVGPRsForWavesPerEU: 2
; Occupancy: 10
; WaveLimiterHint : 0
; COMPUTE_PGM_RSRC2:SCRATCH_EN: 0
; COMPUTE_PGM_RSRC2:USER_SGPR: 6
; COMPUTE_PGM_RSRC2:TRAP_HANDLER: 0
; COMPUTE_PGM_RSRC2:TGID_X_EN: 1
; COMPUTE_PGM_RSRC2:TGID_Y_EN: 0
; COMPUTE_PGM_RSRC2:TGID_Z_EN: 0
; COMPUTE_PGM_RSRC2:TIDIG_COMP_CNT: 0
	.section	.text._Z18benchmark_constantI15HIP_vector_typeIiLj2EEEvPii,"axG",@progbits,_Z18benchmark_constantI15HIP_vector_typeIiLj2EEEvPii,comdat
	.protected	_Z18benchmark_constantI15HIP_vector_typeIiLj2EEEvPii ; -- Begin function _Z18benchmark_constantI15HIP_vector_typeIiLj2EEEvPii
	.globl	_Z18benchmark_constantI15HIP_vector_typeIiLj2EEEvPii
	.p2align	8
	.type	_Z18benchmark_constantI15HIP_vector_typeIiLj2EEEvPii,@function
_Z18benchmark_constantI15HIP_vector_typeIiLj2EEEvPii: ; @_Z18benchmark_constantI15HIP_vector_typeIiLj2EEEvPii
; %bb.0:
	s_mov_b32 s2, 0
	s_mov_b32 s7, -4
	s_mov_b32 s3, 0
	s_getpc_b64 s[0:1]
	s_add_u32 s0, s0, constant_data@rel32@lo+4
	s_addc_u32 s1, s1, constant_data@rel32@hi+12
.LBB1_1:                                ; =>This Inner Loop Header: Depth=1
	s_load_dwordx2 s[8:9], s[0:1], 0x0
	s_load_dwordx2 s[10:11], s[0:1], 0x20
	s_load_dwordx2 s[12:13], s[0:1], 0x40
	s_load_dwordx2 s[14:15], s[0:1], 0x60
	s_load_dwordx2 s[16:17], s[0:1], 0x80
	s_load_dwordx2 s[18:19], s[0:1], 0xa0
	s_load_dwordx2 s[20:21], s[0:1], 0xc0
	s_load_dwordx2 s[22:23], s[0:1], 0xe0
	s_load_dwordx2 s[24:25], s[0:1], 0x100
	s_load_dwordx2 s[26:27], s[0:1], 0x120
	s_load_dwordx2 s[28:29], s[0:1], 0x140
	s_load_dwordx2 s[30:31], s[0:1], 0x160
	s_load_dwordx2 s[34:35], s[0:1], 0x180
	s_load_dwordx2 s[36:37], s[0:1], 0x1a0
	s_load_dwordx2 s[38:39], s[0:1], 0x1c0
	s_load_dwordx2 s[40:41], s[0:1], 0x1e0
	s_waitcnt lgkmcnt(0)
	s_add_i32 s2, s8, s2
	s_add_i32 s3, s9, s3
	s_add_i32 s2, s10, s2
	s_add_i32 s3, s11, s3
	s_add_i32 s2, s12, s2
	s_add_i32 s3, s13, s3
	s_add_i32 s2, s14, s2
	s_add_i32 s3, s15, s3
	s_add_i32 s2, s16, s2
	s_add_i32 s3, s17, s3
	s_add_i32 s2, s18, s2
	s_add_i32 s3, s19, s3
	s_add_i32 s2, s20, s2
	s_add_i32 s3, s21, s3
	s_add_i32 s2, s22, s2
	s_add_i32 s3, s23, s3
	s_add_i32 s2, s24, s2
	s_add_i32 s3, s25, s3
	s_add_i32 s2, s26, s2
	s_add_i32 s3, s27, s3
	s_add_i32 s2, s28, s2
	s_add_i32 s3, s29, s3
	s_add_i32 s2, s30, s2
	s_add_i32 s3, s31, s3
	s_add_i32 s2, s34, s2
	s_add_i32 s3, s35, s3
	s_add_i32 s2, s36, s2
	s_add_i32 s3, s37, s3
	s_add_i32 s2, s38, s2
	s_add_i32 s3, s39, s3
	s_add_i32 s7, s7, 64
	s_add_i32 s2, s40, s2
	s_add_i32 s3, s41, s3
	s_add_u32 s0, s0, 0x200
	s_addc_u32 s1, s1, 0
	s_cmpk_lt_u32 s7, 0x1fc
	s_cbranch_scc1 .LBB1_1
; %bb.2:
	s_mov_b32 s7, -4
	s_getpc_b64 s[0:1]
	s_add_u32 s0, s0, constant_data@rel32@lo+12
	s_addc_u32 s1, s1, constant_data@rel32@hi+20
.LBB1_3:                                ; =>This Inner Loop Header: Depth=1
	s_load_dwordx2 s[8:9], s[0:1], 0x0
	s_load_dwordx2 s[10:11], s[0:1], 0x20
	s_load_dwordx2 s[12:13], s[0:1], 0x40
	s_load_dwordx2 s[14:15], s[0:1], 0x60
	s_load_dwordx2 s[16:17], s[0:1], 0x80
	s_load_dwordx2 s[18:19], s[0:1], 0xa0
	s_load_dwordx2 s[20:21], s[0:1], 0xc0
	s_load_dwordx2 s[22:23], s[0:1], 0xe0
	s_load_dwordx2 s[24:25], s[0:1], 0x100
	s_load_dwordx2 s[26:27], s[0:1], 0x120
	s_load_dwordx2 s[28:29], s[0:1], 0x140
	s_load_dwordx2 s[30:31], s[0:1], 0x160
	s_load_dwordx2 s[34:35], s[0:1], 0x180
	s_load_dwordx2 s[36:37], s[0:1], 0x1a0
	s_load_dwordx2 s[38:39], s[0:1], 0x1c0
	s_load_dwordx2 s[40:41], s[0:1], 0x1e0
	s_waitcnt lgkmcnt(0)
	s_add_i32 s2, s8, s2
	s_add_i32 s3, s9, s3
	s_add_i32 s2, s10, s2
	s_add_i32 s3, s11, s3
	s_add_i32 s2, s12, s2
	s_add_i32 s3, s13, s3
	s_add_i32 s2, s14, s2
	s_add_i32 s3, s15, s3
	s_add_i32 s2, s16, s2
	s_add_i32 s3, s17, s3
	s_add_i32 s2, s18, s2
	s_add_i32 s3, s19, s3
	s_add_i32 s2, s20, s2
	s_add_i32 s3, s21, s3
	s_add_i32 s2, s22, s2
	s_add_i32 s3, s23, s3
	s_add_i32 s2, s24, s2
	s_add_i32 s3, s25, s3
	s_add_i32 s2, s26, s2
	s_add_i32 s3, s27, s3
	s_add_i32 s2, s28, s2
	s_add_i32 s3, s29, s3
	s_add_i32 s2, s30, s2
	s_add_i32 s3, s31, s3
	s_add_i32 s2, s34, s2
	s_add_i32 s3, s35, s3
	s_add_i32 s2, s36, s2
	s_add_i32 s3, s37, s3
	s_add_i32 s2, s38, s2
	s_add_i32 s3, s39, s3
	s_add_i32 s7, s7, 64
	s_add_i32 s2, s40, s2
	s_add_i32 s3, s41, s3
	s_add_u32 s0, s0, 0x200
	s_addc_u32 s1, s1, 0
	s_cmpk_lt_u32 s7, 0x1fc
	s_cbranch_scc1 .LBB1_3
; %bb.4:
	s_mov_b32 s7, -4
	;; [unrolled: 60-line block ×3, first 2 shown]
	s_getpc_b64 s[0:1]
	s_add_u32 s0, s0, constant_data@rel32@lo+28
	s_addc_u32 s1, s1, constant_data@rel32@hi+36
.LBB1_7:                                ; =>This Inner Loop Header: Depth=1
	s_load_dwordx2 s[8:9], s[0:1], 0x0
	s_load_dwordx2 s[10:11], s[0:1], 0x20
	;; [unrolled: 1-line block ×16, first 2 shown]
	s_waitcnt lgkmcnt(0)
	s_add_i32 s2, s8, s2
	s_add_i32 s3, s9, s3
	s_add_i32 s2, s10, s2
	s_add_i32 s3, s11, s3
	s_add_i32 s2, s12, s2
	s_add_i32 s3, s13, s3
	s_add_i32 s2, s14, s2
	s_add_i32 s3, s15, s3
	s_add_i32 s2, s16, s2
	s_add_i32 s3, s17, s3
	s_add_i32 s2, s18, s2
	s_add_i32 s3, s19, s3
	s_add_i32 s2, s20, s2
	s_add_i32 s3, s21, s3
	s_add_i32 s2, s22, s2
	s_add_i32 s3, s23, s3
	s_add_i32 s2, s24, s2
	s_add_i32 s3, s25, s3
	s_add_i32 s2, s26, s2
	s_add_i32 s3, s27, s3
	s_add_i32 s2, s28, s2
	s_add_i32 s3, s29, s3
	s_add_i32 s2, s30, s2
	s_add_i32 s3, s31, s3
	s_add_i32 s2, s34, s2
	s_add_i32 s3, s35, s3
	s_add_i32 s2, s36, s2
	s_add_i32 s3, s37, s3
	s_add_i32 s2, s38, s2
	s_add_i32 s3, s39, s3
	s_add_i32 s7, s7, 64
	s_add_i32 s2, s40, s2
	s_add_i32 s3, s41, s3
	s_add_u32 s0, s0, 0x200
	s_addc_u32 s1, s1, 0
	s_cmpk_lt_u32 s7, 0x1fc
	s_cbranch_scc1 .LBB1_7
; %bb.8:
	v_or_b32_e32 v0, s6, v0
	v_cmp_eq_u32_e32 vcc, 0, v0
	s_and_saveexec_b64 s[0:1], vcc
	s_cbranch_execz .LBB1_10
; %bb.9:
	s_load_dwordx2 s[0:1], s[4:5], 0x0
	s_add_i32 s2, s2, s3
	v_mov_b32_e32 v0, 0
	v_mov_b32_e32 v1, s2
	s_waitcnt lgkmcnt(0)
	global_store_dword v0, v1, s[0:1]
.LBB1_10:
	s_endpgm
	.section	.rodata,"a",@progbits
	.p2align	6, 0x0
	.amdhsa_kernel _Z18benchmark_constantI15HIP_vector_typeIiLj2EEEvPii
		.amdhsa_group_segment_fixed_size 0
		.amdhsa_private_segment_fixed_size 0
		.amdhsa_kernarg_size 12
		.amdhsa_user_sgpr_count 6
		.amdhsa_user_sgpr_private_segment_buffer 1
		.amdhsa_user_sgpr_dispatch_ptr 0
		.amdhsa_user_sgpr_queue_ptr 0
		.amdhsa_user_sgpr_kernarg_segment_ptr 1
		.amdhsa_user_sgpr_dispatch_id 0
		.amdhsa_user_sgpr_flat_scratch_init 0
		.amdhsa_user_sgpr_private_segment_size 0
		.amdhsa_uses_dynamic_stack 0
		.amdhsa_system_sgpr_private_segment_wavefront_offset 0
		.amdhsa_system_sgpr_workgroup_id_x 1
		.amdhsa_system_sgpr_workgroup_id_y 0
		.amdhsa_system_sgpr_workgroup_id_z 0
		.amdhsa_system_sgpr_workgroup_info 0
		.amdhsa_system_vgpr_workitem_id 0
		.amdhsa_next_free_vgpr 2
		.amdhsa_next_free_sgpr 42
		.amdhsa_reserve_vcc 1
		.amdhsa_reserve_flat_scratch 0
		.amdhsa_float_round_mode_32 0
		.amdhsa_float_round_mode_16_64 0
		.amdhsa_float_denorm_mode_32 3
		.amdhsa_float_denorm_mode_16_64 3
		.amdhsa_dx10_clamp 1
		.amdhsa_ieee_mode 1
		.amdhsa_fp16_overflow 0
		.amdhsa_exception_fp_ieee_invalid_op 0
		.amdhsa_exception_fp_denorm_src 0
		.amdhsa_exception_fp_ieee_div_zero 0
		.amdhsa_exception_fp_ieee_overflow 0
		.amdhsa_exception_fp_ieee_underflow 0
		.amdhsa_exception_fp_ieee_inexact 0
		.amdhsa_exception_int_div_zero 0
	.end_amdhsa_kernel
	.section	.text._Z18benchmark_constantI15HIP_vector_typeIiLj2EEEvPii,"axG",@progbits,_Z18benchmark_constantI15HIP_vector_typeIiLj2EEEvPii,comdat
.Lfunc_end1:
	.size	_Z18benchmark_constantI15HIP_vector_typeIiLj2EEEvPii, .Lfunc_end1-_Z18benchmark_constantI15HIP_vector_typeIiLj2EEEvPii
                                        ; -- End function
	.set _Z18benchmark_constantI15HIP_vector_typeIiLj2EEEvPii.num_vgpr, 2
	.set _Z18benchmark_constantI15HIP_vector_typeIiLj2EEEvPii.num_agpr, 0
	.set _Z18benchmark_constantI15HIP_vector_typeIiLj2EEEvPii.numbered_sgpr, 42
	.set _Z18benchmark_constantI15HIP_vector_typeIiLj2EEEvPii.num_named_barrier, 0
	.set _Z18benchmark_constantI15HIP_vector_typeIiLj2EEEvPii.private_seg_size, 0
	.set _Z18benchmark_constantI15HIP_vector_typeIiLj2EEEvPii.uses_vcc, 1
	.set _Z18benchmark_constantI15HIP_vector_typeIiLj2EEEvPii.uses_flat_scratch, 0
	.set _Z18benchmark_constantI15HIP_vector_typeIiLj2EEEvPii.has_dyn_sized_stack, 0
	.set _Z18benchmark_constantI15HIP_vector_typeIiLj2EEEvPii.has_recursion, 0
	.set _Z18benchmark_constantI15HIP_vector_typeIiLj2EEEvPii.has_indirect_call, 0
	.section	.AMDGPU.csdata,"",@progbits
; Kernel info:
; codeLenInByte = 1292
; TotalNumSgprs: 46
; NumVgprs: 2
; ScratchSize: 0
; MemoryBound: 0
; FloatMode: 240
; IeeeMode: 1
; LDSByteSize: 0 bytes/workgroup (compile time only)
; SGPRBlocks: 5
; VGPRBlocks: 0
; NumSGPRsForWavesPerEU: 46
; NumVGPRsForWavesPerEU: 2
; Occupancy: 10
; WaveLimiterHint : 0
; COMPUTE_PGM_RSRC2:SCRATCH_EN: 0
; COMPUTE_PGM_RSRC2:USER_SGPR: 6
; COMPUTE_PGM_RSRC2:TRAP_HANDLER: 0
; COMPUTE_PGM_RSRC2:TGID_X_EN: 1
; COMPUTE_PGM_RSRC2:TGID_Y_EN: 0
; COMPUTE_PGM_RSRC2:TGID_Z_EN: 0
; COMPUTE_PGM_RSRC2:TIDIG_COMP_CNT: 0
	.section	.text._Z18benchmark_constantI15HIP_vector_typeIiLj4EEEvPii,"axG",@progbits,_Z18benchmark_constantI15HIP_vector_typeIiLj4EEEvPii,comdat
	.protected	_Z18benchmark_constantI15HIP_vector_typeIiLj4EEEvPii ; -- Begin function _Z18benchmark_constantI15HIP_vector_typeIiLj4EEEvPii
	.globl	_Z18benchmark_constantI15HIP_vector_typeIiLj4EEEvPii
	.p2align	8
	.type	_Z18benchmark_constantI15HIP_vector_typeIiLj4EEEvPii,@function
_Z18benchmark_constantI15HIP_vector_typeIiLj4EEEvPii: ; @_Z18benchmark_constantI15HIP_vector_typeIiLj4EEEvPii
; %bb.0:
	s_mov_b32 s61, 0
	s_mov_b32 s62, -4
	s_mov_b32 s60, s61
	s_mov_b32 s33, s61
	;; [unrolled: 1-line block ×3, first 2 shown]
	s_getpc_b64 s[34:35]
	s_add_u32 s34, s34, constant_data@rel32@lo+4
	s_addc_u32 s35, s35, constant_data@rel32@hi+12
.LBB2_1:                                ; =>This Inner Loop Header: Depth=1
	s_load_dwordx4 s[56:59], s[34:35], 0x0
	s_load_dwordx4 s[52:55], s[34:35], 0x40
	s_load_dwordx4 s[44:47], s[34:35], 0x80
	s_load_dwordx4 s[0:3], s[34:35], 0xc0
	s_load_dwordx4 s[8:11], s[34:35], 0x100
	s_load_dwordx4 s[12:15], s[34:35], 0x140
	s_load_dwordx4 s[16:19], s[34:35], 0x180
	s_load_dwordx4 s[20:23], s[34:35], 0x1c0
	s_load_dwordx4 s[24:27], s[34:35], 0x200
	s_load_dwordx4 s[28:31], s[34:35], 0x240
	s_load_dwordx4 s[36:39], s[34:35], 0x280
	s_load_dwordx4 s[40:43], s[34:35], 0x2c0
	s_load_dwordx4 s[48:51], s[34:35], 0x300
	s_waitcnt lgkmcnt(0)
	s_add_i32 s61, s56, s61
	s_add_i32 s60, s57, s60
	s_add_i32 s33, s58, s33
	s_add_i32 s7, s59, s7
	s_add_i32 s7, s55, s7
	s_add_i32 s33, s54, s33
	s_add_i32 s60, s53, s60
	s_add_i32 s61, s52, s61
	s_add_i32 s61, s44, s61
	s_add_i32 s60, s45, s60
	s_add_i32 s33, s46, s33
	s_add_i32 s7, s47, s7
	s_add_i32 s3, s3, s7
	s_add_i32 s2, s2, s33
	s_add_i32 s1, s1, s60
	s_add_i32 s0, s0, s61
	s_add_i32 s0, s8, s0
	s_add_i32 s1, s9, s1
	s_add_i32 s2, s10, s2
	s_add_i32 s3, s11, s3
	s_add_i32 s3, s15, s3
	s_add_i32 s2, s14, s2
	s_add_i32 s1, s13, s1
	s_add_i32 s0, s12, s0
	s_add_i32 s0, s16, s0
	s_add_i32 s1, s17, s1
	s_add_i32 s2, s18, s2
	s_add_i32 s3, s19, s3
	s_add_i32 s3, s23, s3
	s_add_i32 s2, s22, s2
	s_add_i32 s1, s21, s1
	s_add_i32 s0, s20, s0
	s_load_dwordx4 s[56:59], s[34:35], 0x340
	s_load_dwordx4 s[52:55], s[34:35], 0x380
	s_add_i32 s0, s24, s0
	s_add_i32 s1, s25, s1
	;; [unrolled: 1-line block ×8, first 2 shown]
	s_load_dwordx4 s[44:47], s[34:35], 0x3c0
	s_add_i32 s0, s36, s0
	s_add_i32 s1, s37, s1
	;; [unrolled: 1-line block ×12, first 2 shown]
	s_waitcnt lgkmcnt(0)
	s_add_i32 s3, s59, s3
	s_add_i32 s2, s58, s2
	;; [unrolled: 1-line block ×13, first 2 shown]
	s_add_u32 s34, s34, 0x400
	s_addc_u32 s35, s35, 0
	s_cmpk_lt_u32 s62, 0xfc
	s_cbranch_scc1 .LBB2_1
; %bb.2:
	s_mov_b32 s62, -4
	s_getpc_b64 s[34:35]
	s_add_u32 s34, s34, constant_data@rel32@lo+20
	s_addc_u32 s35, s35, constant_data@rel32@hi+28
.LBB2_3:                                ; =>This Inner Loop Header: Depth=1
	s_load_dwordx4 s[52:55], s[34:35], 0x0
	s_load_dwordx4 s[56:59], s[34:35], 0x40
	;; [unrolled: 1-line block ×13, first 2 shown]
	s_waitcnt lgkmcnt(0)
	s_add_i32 s61, s52, s61
	s_add_i32 s60, s53, s60
	;; [unrolled: 1-line block ×32, first 2 shown]
	s_load_dwordx4 s[52:55], s[34:35], 0x340
	s_load_dwordx4 s[56:59], s[34:35], 0x380
	s_add_i32 s0, s24, s0
	s_add_i32 s1, s25, s1
	;; [unrolled: 1-line block ×8, first 2 shown]
	s_load_dwordx4 s[48:51], s[34:35], 0x3c0
	s_add_i32 s0, s36, s0
	s_add_i32 s1, s37, s1
	;; [unrolled: 1-line block ×12, first 2 shown]
	s_waitcnt lgkmcnt(0)
	s_add_i32 s3, s55, s3
	s_add_i32 s2, s54, s2
	;; [unrolled: 1-line block ×13, first 2 shown]
	s_add_u32 s34, s34, 0x400
	s_addc_u32 s35, s35, 0
	s_cmpk_lt_u32 s62, 0xfc
	s_cbranch_scc1 .LBB2_3
; %bb.4:
	s_mov_b32 s62, -4
	s_getpc_b64 s[34:35]
	s_add_u32 s34, s34, constant_data@rel32@lo+36
	s_addc_u32 s35, s35, constant_data@rel32@hi+44
.LBB2_5:                                ; =>This Inner Loop Header: Depth=1
	s_load_dwordx4 s[52:55], s[34:35], 0x0
	s_load_dwordx4 s[56:59], s[34:35], 0x40
	;; [unrolled: 1-line block ×13, first 2 shown]
	s_waitcnt lgkmcnt(0)
	s_add_i32 s61, s52, s61
	s_add_i32 s60, s53, s60
	;; [unrolled: 1-line block ×32, first 2 shown]
	s_load_dwordx4 s[52:55], s[34:35], 0x340
	s_load_dwordx4 s[56:59], s[34:35], 0x380
	s_add_i32 s0, s24, s0
	s_add_i32 s1, s25, s1
	;; [unrolled: 1-line block ×8, first 2 shown]
	s_load_dwordx4 s[48:51], s[34:35], 0x3c0
	s_add_i32 s0, s36, s0
	s_add_i32 s1, s37, s1
	;; [unrolled: 1-line block ×12, first 2 shown]
	s_waitcnt lgkmcnt(0)
	s_add_i32 s3, s55, s3
	s_add_i32 s2, s54, s2
	;; [unrolled: 1-line block ×13, first 2 shown]
	s_add_u32 s34, s34, 0x400
	s_addc_u32 s35, s35, 0
	s_cmpk_lt_u32 s62, 0xfc
	s_cbranch_scc1 .LBB2_5
; %bb.6:
	s_mov_b32 s62, -4
	s_getpc_b64 s[34:35]
	s_add_u32 s34, s34, constant_data@rel32@lo+52
	s_addc_u32 s35, s35, constant_data@rel32@hi+60
.LBB2_7:                                ; =>This Inner Loop Header: Depth=1
	s_load_dwordx4 s[52:55], s[34:35], 0x0
	s_load_dwordx4 s[56:59], s[34:35], 0x40
	;; [unrolled: 1-line block ×13, first 2 shown]
	s_waitcnt lgkmcnt(0)
	s_add_i32 s61, s52, s61
	s_add_i32 s60, s53, s60
	s_add_i32 s33, s54, s33
	s_add_i32 s7, s55, s7
	s_add_i32 s7, s59, s7
	s_add_i32 s33, s58, s33
	s_add_i32 s60, s57, s60
	s_add_i32 s61, s56, s61
	s_add_i32 s61, s48, s61
	s_add_i32 s60, s49, s60
	s_add_i32 s33, s50, s33
	s_add_i32 s7, s51, s7
	s_add_i32 s3, s3, s7
	s_add_i32 s2, s2, s33
	s_add_i32 s1, s1, s60
	s_add_i32 s0, s0, s61
	s_add_i32 s0, s8, s0
	s_add_i32 s1, s9, s1
	s_add_i32 s2, s10, s2
	s_add_i32 s3, s11, s3
	s_add_i32 s3, s15, s3
	s_add_i32 s2, s14, s2
	s_add_i32 s1, s13, s1
	s_add_i32 s0, s12, s0
	s_add_i32 s0, s16, s0
	s_add_i32 s1, s17, s1
	s_add_i32 s2, s18, s2
	s_add_i32 s3, s19, s3
	s_add_i32 s3, s23, s3
	s_add_i32 s2, s22, s2
	s_add_i32 s1, s21, s1
	s_add_i32 s0, s20, s0
	s_load_dwordx4 s[52:55], s[34:35], 0x340
	s_load_dwordx4 s[56:59], s[34:35], 0x380
	s_add_i32 s0, s24, s0
	s_add_i32 s1, s25, s1
	;; [unrolled: 1-line block ×8, first 2 shown]
	s_load_dwordx4 s[48:51], s[34:35], 0x3c0
	s_add_i32 s0, s36, s0
	s_add_i32 s1, s37, s1
	;; [unrolled: 1-line block ×12, first 2 shown]
	s_waitcnt lgkmcnt(0)
	s_add_i32 s3, s55, s3
	s_add_i32 s2, s54, s2
	;; [unrolled: 1-line block ×13, first 2 shown]
	s_add_u32 s34, s34, 0x400
	s_addc_u32 s35, s35, 0
	s_cmpk_lt_u32 s62, 0xfc
	s_cbranch_scc1 .LBB2_7
; %bb.8:
	v_or_b32_e32 v0, s6, v0
	v_cmp_eq_u32_e32 vcc, 0, v0
	s_and_saveexec_b64 s[0:1], vcc
	s_cbranch_execz .LBB2_10
; %bb.9:
	s_load_dwordx2 s[0:1], s[4:5], 0x0
	s_add_i32 s2, s60, s7
	s_add_i32 s3, s61, s33
	;; [unrolled: 1-line block ×3, first 2 shown]
	v_mov_b32_e32 v0, 0
	v_mov_b32_e32 v1, s2
	s_waitcnt lgkmcnt(0)
	global_store_dword v0, v1, s[0:1]
.LBB2_10:
	s_endpgm
	.section	.rodata,"a",@progbits
	.p2align	6, 0x0
	.amdhsa_kernel _Z18benchmark_constantI15HIP_vector_typeIiLj4EEEvPii
		.amdhsa_group_segment_fixed_size 0
		.amdhsa_private_segment_fixed_size 0
		.amdhsa_kernarg_size 12
		.amdhsa_user_sgpr_count 6
		.amdhsa_user_sgpr_private_segment_buffer 1
		.amdhsa_user_sgpr_dispatch_ptr 0
		.amdhsa_user_sgpr_queue_ptr 0
		.amdhsa_user_sgpr_kernarg_segment_ptr 1
		.amdhsa_user_sgpr_dispatch_id 0
		.amdhsa_user_sgpr_flat_scratch_init 0
		.amdhsa_user_sgpr_private_segment_size 0
		.amdhsa_uses_dynamic_stack 0
		.amdhsa_system_sgpr_private_segment_wavefront_offset 0
		.amdhsa_system_sgpr_workgroup_id_x 1
		.amdhsa_system_sgpr_workgroup_id_y 0
		.amdhsa_system_sgpr_workgroup_id_z 0
		.amdhsa_system_sgpr_workgroup_info 0
		.amdhsa_system_vgpr_workitem_id 0
		.amdhsa_next_free_vgpr 2
		.amdhsa_next_free_sgpr 63
		.amdhsa_reserve_vcc 1
		.amdhsa_reserve_flat_scratch 0
		.amdhsa_float_round_mode_32 0
		.amdhsa_float_round_mode_16_64 0
		.amdhsa_float_denorm_mode_32 3
		.amdhsa_float_denorm_mode_16_64 3
		.amdhsa_dx10_clamp 1
		.amdhsa_ieee_mode 1
		.amdhsa_fp16_overflow 0
		.amdhsa_exception_fp_ieee_invalid_op 0
		.amdhsa_exception_fp_denorm_src 0
		.amdhsa_exception_fp_ieee_div_zero 0
		.amdhsa_exception_fp_ieee_overflow 0
		.amdhsa_exception_fp_ieee_underflow 0
		.amdhsa_exception_fp_ieee_inexact 0
		.amdhsa_exception_int_div_zero 0
	.end_amdhsa_kernel
	.section	.text._Z18benchmark_constantI15HIP_vector_typeIiLj4EEEvPii,"axG",@progbits,_Z18benchmark_constantI15HIP_vector_typeIiLj4EEEvPii,comdat
.Lfunc_end2:
	.size	_Z18benchmark_constantI15HIP_vector_typeIiLj4EEEvPii, .Lfunc_end2-_Z18benchmark_constantI15HIP_vector_typeIiLj4EEEvPii
                                        ; -- End function
	.set _Z18benchmark_constantI15HIP_vector_typeIiLj4EEEvPii.num_vgpr, 2
	.set _Z18benchmark_constantI15HIP_vector_typeIiLj4EEEvPii.num_agpr, 0
	.set _Z18benchmark_constantI15HIP_vector_typeIiLj4EEEvPii.numbered_sgpr, 63
	.set _Z18benchmark_constantI15HIP_vector_typeIiLj4EEEvPii.num_named_barrier, 0
	.set _Z18benchmark_constantI15HIP_vector_typeIiLj4EEEvPii.private_seg_size, 0
	.set _Z18benchmark_constantI15HIP_vector_typeIiLj4EEEvPii.uses_vcc, 1
	.set _Z18benchmark_constantI15HIP_vector_typeIiLj4EEEvPii.uses_flat_scratch, 0
	.set _Z18benchmark_constantI15HIP_vector_typeIiLj4EEEvPii.has_dyn_sized_stack, 0
	.set _Z18benchmark_constantI15HIP_vector_typeIiLj4EEEvPii.has_recursion, 0
	.set _Z18benchmark_constantI15HIP_vector_typeIiLj4EEEvPii.has_indirect_call, 0
	.section	.AMDGPU.csdata,"",@progbits
; Kernel info:
; codeLenInByte = 1836
; TotalNumSgprs: 67
; NumVgprs: 2
; ScratchSize: 0
; MemoryBound: 1
; FloatMode: 240
; IeeeMode: 1
; LDSByteSize: 0 bytes/workgroup (compile time only)
; SGPRBlocks: 8
; VGPRBlocks: 0
; NumSGPRsForWavesPerEU: 67
; NumVGPRsForWavesPerEU: 2
; Occupancy: 10
; WaveLimiterHint : 1
; COMPUTE_PGM_RSRC2:SCRATCH_EN: 0
; COMPUTE_PGM_RSRC2:USER_SGPR: 6
; COMPUTE_PGM_RSRC2:TRAP_HANDLER: 0
; COMPUTE_PGM_RSRC2:TGID_X_EN: 1
; COMPUTE_PGM_RSRC2:TGID_Y_EN: 0
; COMPUTE_PGM_RSRC2:TGID_Z_EN: 0
; COMPUTE_PGM_RSRC2:TIDIG_COMP_CNT: 0
	.section	.AMDGPU.gpr_maximums,"",@progbits
	.set amdgpu.max_num_vgpr, 0
	.set amdgpu.max_num_agpr, 0
	.set amdgpu.max_num_sgpr, 0
	.section	.AMDGPU.csdata,"",@progbits
	.protected	constant_data           ; @constant_data
	.type	constant_data,@object
	.section	.rodata,"a",@progbits
	.globl	constant_data
	.p2align	4, 0x0
constant_data:
	.zero	4096
	.size	constant_data, 4096

	.type	__hip_cuid_b6f01aca3cf30c20,@object ; @__hip_cuid_b6f01aca3cf30c20
	.section	.bss,"aw",@nobits
	.globl	__hip_cuid_b6f01aca3cf30c20
__hip_cuid_b6f01aca3cf30c20:
	.byte	0                               ; 0x0
	.size	__hip_cuid_b6f01aca3cf30c20, 1

	.ident	"AMD clang version 22.0.0git (https://github.com/RadeonOpenCompute/llvm-project roc-7.2.4 26084 f58b06dce1f9c15707c5f808fd002e18c2accf7e)"
	.section	".note.GNU-stack","",@progbits
	.addrsig
	.addrsig_sym constant_data
	.addrsig_sym __hip_cuid_b6f01aca3cf30c20
	.amdgpu_metadata
---
amdhsa.kernels:
  - .args:
      - .address_space:  global
        .offset:         0
        .size:           8
        .value_kind:     global_buffer
      - .offset:         8
        .size:           4
        .value_kind:     by_value
    .group_segment_fixed_size: 0
    .kernarg_segment_align: 8
    .kernarg_segment_size: 12
    .language:       OpenCL C
    .language_version:
      - 2
      - 0
    .max_flat_workgroup_size: 1024
    .name:           _Z18benchmark_constantIiEvPii
    .private_segment_fixed_size: 0
    .sgpr_count:     27
    .sgpr_spill_count: 0
    .symbol:         _Z18benchmark_constantIiEvPii.kd
    .uniform_work_group_size: 1
    .uses_dynamic_stack: false
    .vgpr_count:     2
    .vgpr_spill_count: 0
    .wavefront_size: 64
  - .args:
      - .address_space:  global
        .offset:         0
        .size:           8
        .value_kind:     global_buffer
      - .offset:         8
        .size:           4
        .value_kind:     by_value
    .group_segment_fixed_size: 0
    .kernarg_segment_align: 8
    .kernarg_segment_size: 12
    .language:       OpenCL C
    .language_version:
      - 2
      - 0
    .max_flat_workgroup_size: 1024
    .name:           _Z18benchmark_constantI15HIP_vector_typeIiLj2EEEvPii
    .private_segment_fixed_size: 0
    .sgpr_count:     46
    .sgpr_spill_count: 0
    .symbol:         _Z18benchmark_constantI15HIP_vector_typeIiLj2EEEvPii.kd
    .uniform_work_group_size: 1
    .uses_dynamic_stack: false
    .vgpr_count:     2
    .vgpr_spill_count: 0
    .wavefront_size: 64
  - .args:
      - .address_space:  global
        .offset:         0
        .size:           8
        .value_kind:     global_buffer
      - .offset:         8
        .size:           4
        .value_kind:     by_value
    .group_segment_fixed_size: 0
    .kernarg_segment_align: 8
    .kernarg_segment_size: 12
    .language:       OpenCL C
    .language_version:
      - 2
      - 0
    .max_flat_workgroup_size: 1024
    .name:           _Z18benchmark_constantI15HIP_vector_typeIiLj4EEEvPii
    .private_segment_fixed_size: 0
    .sgpr_count:     67
    .sgpr_spill_count: 0
    .symbol:         _Z18benchmark_constantI15HIP_vector_typeIiLj4EEEvPii.kd
    .uniform_work_group_size: 1
    .uses_dynamic_stack: false
    .vgpr_count:     2
    .vgpr_spill_count: 0
    .wavefront_size: 64
amdhsa.target:   amdgcn-amd-amdhsa--gfx906
amdhsa.version:
  - 1
  - 2
...

	.end_amdgpu_metadata
